;; amdgpu-corpus repo=ROCm/rocFFT kind=compiled arch=gfx950 opt=O3
	.text
	.amdgcn_target "amdgcn-amd-amdhsa--gfx950"
	.amdhsa_code_object_version 6
	.protected	fft_rtc_back_len50_factors_10_5_wgs_50_tpt_5_dp_op_CI_CI_sbrc_erc_z_xy_aligned ; -- Begin function fft_rtc_back_len50_factors_10_5_wgs_50_tpt_5_dp_op_CI_CI_sbrc_erc_z_xy_aligned
	.globl	fft_rtc_back_len50_factors_10_5_wgs_50_tpt_5_dp_op_CI_CI_sbrc_erc_z_xy_aligned
	.p2align	8
	.type	fft_rtc_back_len50_factors_10_5_wgs_50_tpt_5_dp_op_CI_CI_sbrc_erc_z_xy_aligned,@function
fft_rtc_back_len50_factors_10_5_wgs_50_tpt_5_dp_op_CI_CI_sbrc_erc_z_xy_aligned: ; @fft_rtc_back_len50_factors_10_5_wgs_50_tpt_5_dp_op_CI_CI_sbrc_erc_z_xy_aligned
; %bb.0:
	s_load_dwordx8 s[4:11], s[0:1], 0x0
	v_mov_b32_e32 v15, 0
	s_mov_b32 s28, 0x9b97f4a8
	s_mov_b32 s29, 0x3fe9e377
	;; [unrolled: 1-line block ×3, first 2 shown]
	s_waitcnt lgkmcnt(0)
	s_load_dwordx4 s[12:15], s[8:9], 0x8
	s_load_dwordx4 s[16:19], s[10:11], 0x0
	s_waitcnt lgkmcnt(0)
	s_load_dword s19, s[10:11], 0x10
	v_cmp_gt_u32_e32 vcc, 10, v0
	s_load_dwordx2 s[8:9], s[0:1], 0x20
	s_add_i32 s3, s12, -1
	s_mul_hi_u32 s3, s3, 0xcccccccd
	s_lshr_b32 s3, s3, 3
	s_add_i32 s20, s3, 1
	s_mul_i32 s21, s20, s14
	v_cvt_f32_u32_e32 v2, s21
	v_cvt_f32_u32_e32 v1, s20
	s_sub_i32 s22, 0, s21
	s_waitcnt lgkmcnt(0)
	s_load_dwordx4 s[12:15], s[8:9], 0x0
	v_rcp_iflag_f32_e32 v2, v2
	v_rcp_iflag_f32_e32 v1, v1
	s_waitcnt lgkmcnt(0)
	s_load_dword s15, s[8:9], 0x10
	v_mul_f32_e32 v2, 0x4f7ffffe, v2
	v_cvt_u32_f32_e32 v2, v2
	v_mul_f32_e32 v1, 0x4f7ffffe, v1
	v_cvt_u32_f32_e32 v1, v1
	v_readfirstlane_b32 s24, v2
	s_mul_i32 s22, s22, s24
	s_mul_hi_u32 s22, s24, s22
	s_add_i32 s24, s24, s22
	s_mul_hi_u32 s22, s2, s24
	s_mul_i32 s24, s22, s21
	s_sub_i32 s24, s2, s24
	s_add_i32 s25, s22, 1
	s_sub_i32 s26, s24, s21
	s_cmp_ge_u32 s24, s21
	s_cselect_b32 s22, s25, s22
	s_cselect_b32 s24, s26, s24
	s_add_i32 s25, s22, 1
	s_cmp_ge_u32 s24, s21
	v_readfirstlane_b32 s23, v1
	s_cselect_b32 s26, s25, s22
	s_not_b32 s3, s3
	s_mul_i32 s3, s3, s23
	s_mul_i32 s21, s26, s21
	s_mul_hi_u32 s3, s23, s3
	s_sub_i32 s21, s2, s21
	s_add_i32 s23, s23, s3
	s_mul_hi_u32 s3, s21, s23
	s_mul_i32 s22, s3, s20
	s_sub_i32 s21, s21, s22
	s_add_i32 s22, s3, 1
	s_sub_i32 s24, s21, s20
	s_cmp_ge_u32 s21, s20
	s_cselect_b32 s3, s22, s3
	s_cselect_b32 s21, s24, s21
	s_add_i32 s22, s3, 1
	s_cmp_ge_u32 s21, s20
	s_cselect_b32 s27, s22, s3
	s_mul_hi_u32 s3, s2, s23
	s_mul_i32 s3, s3, s20
	s_sub_i32 s2, s2, s3
	s_sub_i32 s3, s2, s20
	s_cmp_ge_u32 s2, s20
	s_cselect_b32 s2, s3, s2
	s_sub_i32 s3, s2, s20
	s_cmp_ge_u32 s2, s20
	s_cselect_b32 s2, s3, s2
	s_mul_i32 s2, s2, 10
	s_mul_i32 s3, s27, s19
	;; [unrolled: 1-line block ×3, first 2 shown]
	s_add_i32 s20, s19, s3
	s_mul_i32 s3, s13, s2
	s_mul_hi_u32 s19, s12, s2
	s_add_i32 s3, s19, s3
	s_lshl_b64 s[6:7], s[6:7], 3
	s_add_u32 s10, s10, s6
	s_addc_u32 s11, s11, s7
	s_load_dwordx2 s[22:23], s[10:11], 0x0
	v_mul_u32_u24_e32 v1, 0x51f, v0
	v_lshrrev_b32_e32 v1, 16, v1
	v_mul_lo_u16_e32 v2, 50, v1
	v_sub_u16_e32 v48, v0, v2
	s_waitcnt lgkmcnt(0)
	s_mul_i32 s10, s23, s26
	s_mul_hi_u32 s11, s22, s26
	s_add_i32 s23, s11, s10
	s_add_u32 s24, s8, s6
	s_addc_u32 s25, s9, s7
	s_load_dwordx2 s[6:7], s[24:25], 0x0
	s_load_dwordx4 s[8:11], s[0:1], 0x58
	v_mad_u64_u32 v[2:3], s[24:25], s16, v48, 0
	v_mov_b32_e32 v4, v3
	s_mul_i32 s22, s22, s26
	s_waitcnt lgkmcnt(0)
	s_mul_i32 s0, s7, s26
	s_mul_hi_u32 s1, s6, s26
	v_mad_u64_u32 v[4:5], s[16:17], s17, v48, v[4:5]
	s_add_i32 s1, s1, s0
	s_lshl_b64 s[16:17], s[22:23], 4
	s_mov_b32 s21, 0
	s_add_u32 s0, s8, s16
	s_addc_u32 s7, s9, s17
	s_lshl_b64 s[8:9], s[20:21], 4
	s_add_u32 s8, s0, s8
	v_mov_b32_e32 v3, v4
	s_addc_u32 s9, s7, s9
	v_mul_lo_u32 v14, s18, v1
	v_lshl_add_u64 v[20:21], v[2:3], 4, s[8:9]
	v_lshl_add_u64 v[10:11], v[14:15], 4, v[20:21]
	v_add_u32_e32 v14, s18, v14
	v_lshl_add_u64 v[12:13], v[14:15], 4, v[20:21]
	v_add_u32_e32 v14, s18, v14
	;; [unrolled: 2-line block ×4, first 2 shown]
	global_load_dwordx4 v[2:5], v[10:11], off
	global_load_dwordx4 v[6:9], v[12:13], off
	s_nop 0
	global_load_dwordx4 v[10:13], v[22:23], off
	global_load_dwordx4 v[16:19], v[24:25], off
	v_lshl_add_u64 v[22:23], v[14:15], 4, v[20:21]
	v_add_u32_e32 v14, s18, v14
	v_lshl_add_u64 v[32:33], v[14:15], 4, v[20:21]
	v_add_u32_e32 v14, s18, v14
	global_load_dwordx4 v[24:27], v[22:23], off
	global_load_dwordx4 v[28:31], v[32:33], off
	v_lshl_add_u64 v[22:23], v[14:15], 4, v[20:21]
	v_add_u32_e32 v14, s18, v14
	v_lshl_add_u64 v[40:41], v[14:15], 4, v[20:21]
	v_add_u32_e32 v14, s18, v14
	global_load_dwordx4 v[32:35], v[22:23], off
	global_load_dwordx4 v[36:39], v[40:41], off
	v_lshl_add_u64 v[22:23], v[14:15], 4, v[20:21]
	v_add_u32_e32 v14, s18, v14
	v_lshl_add_u64 v[20:21], v[14:15], 4, v[20:21]
	global_load_dwordx4 v[40:43], v[22:23], off
	global_load_dwordx4 v[44:47], v[20:21], off
	v_mul_u32_u24_e32 v20, 0x3334, v0
	v_mul_u32_u24_e32 v1, 0x330, v1
	v_lshlrev_b32_e32 v22, 4, v48
	s_mov_b32 s0, 0xcccccccd
	v_mov_b32_e32 v14, 5
	v_add3_u32 v23, 0, v1, v22
	v_add_u32_sdwa v1, s2, v20 dst_sel:DWORD dst_unused:UNUSED_PAD src0_sel:DWORD src1_sel:WORD_1
	v_mul_lo_u16_sdwa v14, v20, v14 dst_sel:DWORD dst_unused:UNUSED_PAD src0_sel:WORD_1 src1_sel:DWORD
	v_mul_hi_u32 v20, v1, s0
	v_lshrrev_b32_e32 v20, 3, v20
	v_mul_lo_u32 v20, v20, 10
	v_sub_u32_e32 v1, v1, v20
	v_sub_u16_e32 v14, v0, v14
	v_mul_u32_u24_e32 v1, 51, v1
	v_lshlrev_b32_e32 v21, 4, v14
	v_lshlrev_b32_e32 v1, 4, v1
	v_add_u32_e32 v48, 0x800, v23
	v_add_u32_e32 v49, 0x1000, v23
	v_add_u32_e32 v50, 0x1800, v23
	v_add3_u32 v22, 0, v1, v21
	v_add3_u32 v1, 0, v21, v1
	s_mov_b32 s16, 0x134454ff
	s_mov_b32 s17, 0xbfee6f0e
	;; [unrolled: 1-line block ×11, first 2 shown]
	s_movk_i32 s0, 0x90
	v_mad_u32_u24 v66, v14, s0, v1
	s_mul_i32 s2, s12, s2
	s_lshl_b64 s[2:3], s[2:3], 4
	s_mul_i32 s20, s27, s14
	s_mul_i32 s0, s6, s26
	s_waitcnt vmcnt(9)
	ds_write_b128 v23, v[2:5]
	s_waitcnt vmcnt(8)
	ds_write_b128 v23, v[6:9] offset:816
	s_waitcnt vmcnt(7)
	ds_write_b128 v23, v[10:13] offset:1632
	s_waitcnt vmcnt(6)
	ds_write_b128 v23, v[16:19] offset:2448
	s_waitcnt vmcnt(5)
	ds_write2_b64 v48, v[24:25], v[26:27] offset0:152 offset1:153
	s_waitcnt vmcnt(4)
	ds_write2_b64 v48, v[28:29], v[30:31] offset0:254 offset1:255
	;; [unrolled: 2-line block ×6, first 2 shown]
	s_waitcnt lgkmcnt(0)
	; wave barrier
	s_waitcnt lgkmcnt(0)
	ds_read_b128 v[2:5], v22
	ds_read_b128 v[6:9], v1 offset:80
	ds_read_b128 v[24:27], v1 offset:160
	;; [unrolled: 1-line block ×9, first 2 shown]
	s_waitcnt lgkmcnt(5)
	v_add_f64 v[20:21], v[24:25], -v[28:29]
	s_waitcnt lgkmcnt(3)
	v_add_f64 v[16:17], v[28:29], v[36:37]
	v_fma_f64 v[16:17], -0.5, v[16:17], v[2:3]
	s_waitcnt lgkmcnt(1)
	v_add_f64 v[54:55], v[26:27], -v[46:47]
	v_fma_f64 v[18:19], s[16:17], v[54:55], v[16:17]
	v_add_f64 v[56:57], v[30:31], -v[38:39]
	v_add_f64 v[58:59], v[44:45], -v[36:37]
	v_fmac_f64_e32 v[16:17], s[22:23], v[54:55]
	v_fmac_f64_e32 v[18:19], s[8:9], v[56:57]
	v_add_f64 v[20:21], v[20:21], v[58:59]
	v_fmac_f64_e32 v[16:17], s[24:25], v[56:57]
	v_fmac_f64_e32 v[18:19], s[18:19], v[20:21]
	v_fmac_f64_e32 v[16:17], s[18:19], v[20:21]
	v_add_f64 v[20:21], v[24:25], v[44:45]
	v_add_f64 v[52:53], v[2:3], v[24:25]
	v_fmac_f64_e32 v[2:3], -0.5, v[20:21]
	v_add_f64 v[20:21], v[28:29], -v[24:25]
	v_add_f64 v[58:59], v[36:37], -v[44:45]
	v_add_f64 v[58:59], v[20:21], v[58:59]
	v_fma_f64 v[20:21], s[22:23], v[56:57], v[2:3]
	v_fmac_f64_e32 v[2:3], s[16:17], v[56:57]
	v_add_f64 v[60:61], v[28:29], -v[36:37]
	v_add_f64 v[28:29], v[52:53], v[28:29]
	v_add_f64 v[52:53], v[4:5], v[26:27]
	v_fmac_f64_e32 v[20:21], s[8:9], v[54:55]
	v_fmac_f64_e32 v[2:3], s[24:25], v[54:55]
	v_add_f64 v[54:55], v[30:31], v[38:39]
	v_add_f64 v[56:57], v[26:27], -v[30:31]
	v_add_f64 v[52:53], v[52:53], v[30:31]
	v_add_f64 v[30:31], v[30:31], -v[26:27]
	v_add_f64 v[26:27], v[26:27], v[46:47]
	v_fma_f64 v[54:55], -0.5, v[54:55], v[4:5]
	v_fmac_f64_e32 v[4:5], -0.5, v[26:27]
	v_add_f64 v[24:25], v[24:25], -v[44:45]
	v_add_f64 v[28:29], v[28:29], v[36:37]
	v_add_f64 v[36:37], v[52:53], v[38:39]
	v_fma_f64 v[52:53], s[16:17], v[60:61], v[4:5]
	v_add_f64 v[26:27], v[38:39], -v[46:47]
	v_fmac_f64_e32 v[4:5], s[22:23], v[60:61]
	v_fmac_f64_e32 v[20:21], s[18:19], v[58:59]
	;; [unrolled: 1-line block ×3, first 2 shown]
	v_add_f64 v[58:59], v[46:47], -v[38:39]
	v_fmac_f64_e32 v[52:53], s[24:25], v[24:25]
	v_add_f64 v[26:27], v[30:31], v[26:27]
	v_fmac_f64_e32 v[4:5], s[8:9], v[24:25]
	v_add_f64 v[56:57], v[56:57], v[58:59]
	v_fma_f64 v[58:59], s[22:23], v[24:25], v[54:55]
	v_fmac_f64_e32 v[54:55], s[16:17], v[24:25]
	v_fmac_f64_e32 v[52:53], s[18:19], v[26:27]
	;; [unrolled: 1-line block ×3, first 2 shown]
	v_add_f64 v[26:27], v[32:33], v[40:41]
	v_fmac_f64_e32 v[58:59], s[24:25], v[60:61]
	v_fmac_f64_e32 v[54:55], s[8:9], v[60:61]
	v_add_f64 v[28:29], v[28:29], v[44:45]
	v_fma_f64 v[44:45], -0.5, v[26:27], v[6:7]
	s_waitcnt lgkmcnt(0)
	v_add_f64 v[26:27], v[12:13], -v[50:51]
	v_fmac_f64_e32 v[58:59], s[18:19], v[56:57]
	v_fmac_f64_e32 v[54:55], s[18:19], v[56:57]
	v_add_f64 v[36:37], v[36:37], v[46:47]
	v_fma_f64 v[30:31], s[16:17], v[26:27], v[44:45]
	v_add_f64 v[38:39], v[34:35], -v[42:43]
	v_add_f64 v[46:47], v[10:11], -v[32:33]
	;; [unrolled: 1-line block ×3, first 2 shown]
	v_fmac_f64_e32 v[44:45], s[22:23], v[26:27]
	v_fmac_f64_e32 v[30:31], s[8:9], v[38:39]
	v_add_f64 v[46:47], v[46:47], v[56:57]
	v_fmac_f64_e32 v[44:45], s[24:25], v[38:39]
	v_fmac_f64_e32 v[30:31], s[18:19], v[46:47]
	;; [unrolled: 1-line block ×3, first 2 shown]
	v_add_f64 v[46:47], v[10:11], v[48:49]
	v_add_f64 v[24:25], v[6:7], v[10:11]
	v_fmac_f64_e32 v[6:7], -0.5, v[46:47]
	v_add_f64 v[46:47], v[32:33], -v[10:11]
	v_add_f64 v[56:57], v[40:41], -v[48:49]
	v_add_f64 v[46:47], v[46:47], v[56:57]
	v_fma_f64 v[56:57], s[22:23], v[38:39], v[6:7]
	v_fmac_f64_e32 v[6:7], s[16:17], v[38:39]
	v_fmac_f64_e32 v[56:57], s[8:9], v[26:27]
	;; [unrolled: 1-line block ×3, first 2 shown]
	v_add_f64 v[26:27], v[34:35], v[42:43]
	v_fmac_f64_e32 v[56:57], s[18:19], v[46:47]
	v_fmac_f64_e32 v[6:7], s[18:19], v[46:47]
	v_fma_f64 v[46:47], -0.5, v[26:27], v[8:9]
	v_add_f64 v[26:27], v[12:13], -v[34:35]
	v_add_f64 v[38:39], v[50:51], -v[42:43]
	;; [unrolled: 1-line block ×3, first 2 shown]
	v_add_f64 v[26:27], v[26:27], v[38:39]
	v_fma_f64 v[38:39], s[22:23], v[10:11], v[46:47]
	v_add_f64 v[60:61], v[32:33], -v[40:41]
	v_fmac_f64_e32 v[46:47], s[16:17], v[10:11]
	v_fmac_f64_e32 v[38:39], s[24:25], v[60:61]
	;; [unrolled: 1-line block ×5, first 2 shown]
	v_add_f64 v[24:25], v[24:25], v[32:33]
	v_add_f64 v[26:27], v[8:9], v[12:13]
	v_add_f64 v[32:33], v[34:35], -v[12:13]
	v_add_f64 v[12:13], v[12:13], v[50:51]
	v_fmac_f64_e32 v[8:9], -0.5, v[12:13]
	v_add_f64 v[24:25], v[24:25], v[40:41]
	v_fma_f64 v[40:41], s[16:17], v[60:61], v[8:9]
	v_add_f64 v[12:13], v[42:43], -v[50:51]
	v_add_f64 v[26:27], v[26:27], v[34:35]
	v_fmac_f64_e32 v[40:41], s[24:25], v[10:11]
	v_add_f64 v[12:13], v[32:33], v[12:13]
	v_fmac_f64_e32 v[8:9], s[22:23], v[60:61]
	v_add_f64 v[34:35], v[24:25], v[48:49]
	v_add_f64 v[24:25], v[26:27], v[42:43]
	v_fmac_f64_e32 v[40:41], s[18:19], v[12:13]
	v_fmac_f64_e32 v[8:9], s[8:9], v[10:11]
	v_mul_f64 v[42:43], v[38:39], s[8:9]
	v_mul_f64 v[60:61], v[30:31], s[24:25]
	v_fmac_f64_e32 v[8:9], s[18:19], v[12:13]
	v_fmac_f64_e32 v[42:43], s[28:29], v[30:31]
	v_mul_f64 v[48:49], v[40:41], s[16:17]
	v_fmac_f64_e32 v[60:61], s[28:29], v[38:39]
	v_mul_f64 v[64:65], v[40:41], s[18:19]
	s_mov_b32 s29, 0xbfe9e377
	v_add_f64 v[26:27], v[24:25], v[50:51]
	v_fmac_f64_e32 v[48:49], s[18:19], v[56:57]
	v_mul_f64 v[50:51], v[8:9], s[16:17]
	v_mul_f64 v[62:63], v[8:9], s[30:31]
	v_fmac_f64_e32 v[64:65], s[22:23], v[56:57]
	v_mul_f64 v[56:57], v[46:47], s[8:9]
	v_mul_f64 v[46:47], v[46:47], s[28:29]
	v_add_f64 v[10:11], v[28:29], v[34:35]
	v_add_f64 v[24:25], v[18:19], v[42:43]
	v_fmac_f64_e32 v[50:51], s[30:31], v[6:7]
	v_fmac_f64_e32 v[62:63], s[22:23], v[6:7]
	v_add_f64 v[6:7], v[20:21], v[48:49]
	v_add_f64 v[12:13], v[36:37], v[26:27]
	v_add_f64 v[30:31], v[36:37], -v[26:27]
	v_fmac_f64_e32 v[56:57], s[28:29], v[44:45]
	v_add_f64 v[36:37], v[18:19], -v[42:43]
	v_fmac_f64_e32 v[46:47], s[24:25], v[44:45]
	v_add_f64 v[18:19], v[20:21], -v[48:49]
	v_add_f64 v[20:21], v[52:53], -v[64:65]
	;; [unrolled: 1-line block ×3, first 2 shown]
	v_add_f64 v[32:33], v[2:3], v[50:51]
	v_add_f64 v[26:27], v[58:59], v[60:61]
	v_add_f64 v[38:39], v[58:59], -v[60:61]
	v_add_f64 v[40:41], v[16:17], v[56:57]
	v_add_f64 v[8:9], v[52:53], v[64:65]
	;; [unrolled: 1-line block ×4, first 2 shown]
	v_add_f64 v[2:3], v[2:3], -v[50:51]
	v_add_f64 v[44:45], v[16:17], -v[56:57]
	;; [unrolled: 1-line block ×4, first 2 shown]
	s_waitcnt lgkmcnt(0)
	; wave barrier
	ds_write_b128 v66, v[10:13]
	ds_write_b128 v66, v[24:27] offset:16
	ds_write_b128 v66, v[6:9] offset:32
	;; [unrolled: 1-line block ×9, first 2 shown]
	v_lshlrev_b32_e32 v20, 6, v14
	s_waitcnt lgkmcnt(0)
	; wave barrier
	s_waitcnt lgkmcnt(0)
	global_load_dwordx4 v[2:5], v20, s[4:5]
	global_load_dwordx4 v[6:9], v20, s[4:5] offset:16
	global_load_dwordx4 v[10:13], v20, s[4:5] offset:32
	global_load_dwordx4 v[16:19], v20, s[4:5] offset:48
	v_add_u32_e32 v20, 0x140, v20
	global_load_dwordx4 v[24:27], v20, s[4:5]
	global_load_dwordx4 v[28:31], v20, s[4:5] offset:16
	global_load_dwordx4 v[32:35], v20, s[4:5] offset:32
	;; [unrolled: 1-line block ×3, first 2 shown]
	ds_read_b128 v[40:43], v1 offset:160
	ds_read_b128 v[44:47], v1 offset:320
	;; [unrolled: 1-line block ×3, first 2 shown]
	s_movk_i32 s4, 0xff70
	v_mad_i32_i24 v14, v14, s4, v66
	s_waitcnt vmcnt(7) lgkmcnt(2)
	v_mul_f64 v[52:53], v[42:43], v[4:5]
	v_mul_f64 v[4:5], v[40:41], v[4:5]
	v_fmac_f64_e32 v[52:53], v[40:41], v[2:3]
	v_fma_f64 v[54:55], v[42:43], v[2:3], -v[4:5]
	ds_read_b128 v[2:5], v1 offset:480
	ds_read_b128 v[40:43], v1 offset:400
	s_waitcnt vmcnt(6) lgkmcnt(3)
	v_mul_f64 v[56:57], v[46:47], v[8:9]
	v_mul_f64 v[8:9], v[44:45], v[8:9]
	v_fmac_f64_e32 v[56:57], v[44:45], v[6:7]
	v_fma_f64 v[44:45], v[46:47], v[6:7], -v[8:9]
	ds_read_b128 v[6:9], v1 offset:640
	s_waitcnt vmcnt(5) lgkmcnt(2)
	v_mul_f64 v[46:47], v[4:5], v[12:13]
	v_fmac_f64_e32 v[46:47], v[2:3], v[10:11]
	v_mul_f64 v[2:3], v[2:3], v[12:13]
	v_fma_f64 v[58:59], v[4:5], v[10:11], -v[2:3]
	ds_read_b128 v[10:13], v1 offset:560
	s_waitcnt vmcnt(4) lgkmcnt(1)
	v_mul_f64 v[60:61], v[8:9], v[18:19]
	v_fmac_f64_e32 v[60:61], v[6:7], v[16:17]
	v_mul_f64 v[2:3], v[6:7], v[18:19]
	s_waitcnt vmcnt(3)
	v_mul_f64 v[64:65], v[50:51], v[26:27]
	v_mul_f64 v[6:7], v[48:49], v[26:27]
	v_fma_f64 v[62:63], v[8:9], v[16:17], -v[2:3]
	v_fmac_f64_e32 v[64:65], v[48:49], v[24:25]
	v_fma_f64 v[48:49], v[50:51], v[24:25], -v[6:7]
	ds_read_b128 v[6:9], v1 offset:720
	ds_read_b128 v[24:27], v14 offset:80
	ds_read_b128 v[2:5], v22
	s_waitcnt vmcnt(2)
	v_mul_f64 v[50:51], v[42:43], v[30:31]
	v_mul_f64 v[16:17], v[40:41], v[30:31]
	v_fmac_f64_e32 v[50:51], v[40:41], v[28:29]
	v_fma_f64 v[40:41], v[42:43], v[28:29], -v[16:17]
	s_waitcnt vmcnt(1) lgkmcnt(3)
	v_mul_f64 v[42:43], v[12:13], v[34:35]
	v_fmac_f64_e32 v[42:43], v[10:11], v[32:33]
	v_mul_f64 v[10:11], v[10:11], v[34:35]
	s_waitcnt vmcnt(0) lgkmcnt(2)
	v_mul_f64 v[34:35], v[8:9], v[38:39]
	v_fmac_f64_e32 v[34:35], v[6:7], v[36:37]
	v_mul_f64 v[6:7], v[6:7], v[38:39]
	v_fma_f64 v[36:37], v[8:9], v[36:37], -v[6:7]
	v_add_f64 v[6:7], v[56:57], v[46:47]
	v_fma_f64 v[32:33], v[12:13], v[32:33], -v[10:11]
	s_waitcnt lgkmcnt(0)
	v_fma_f64 v[6:7], -0.5, v[6:7], v[2:3]
	v_add_f64 v[12:13], v[54:55], -v[62:63]
	v_fma_f64 v[10:11], s[16:17], v[12:13], v[6:7]
	v_add_f64 v[18:19], v[44:45], -v[58:59]
	v_add_f64 v[16:17], v[52:53], -v[56:57]
	;; [unrolled: 1-line block ×3, first 2 shown]
	v_fmac_f64_e32 v[6:7], s[22:23], v[12:13]
	v_add_f64 v[8:9], v[2:3], v[52:53]
	v_fmac_f64_e32 v[10:11], s[8:9], v[18:19]
	v_add_f64 v[16:17], v[16:17], v[20:21]
	v_fmac_f64_e32 v[6:7], s[24:25], v[18:19]
	v_fmac_f64_e32 v[10:11], s[18:19], v[16:17]
	;; [unrolled: 1-line block ×3, first 2 shown]
	v_add_f64 v[16:17], v[52:53], v[60:61]
	v_add_f64 v[8:9], v[8:9], v[56:57]
	v_fmac_f64_e32 v[2:3], -0.5, v[16:17]
	v_add_f64 v[16:17], v[56:57], -v[52:53]
	v_add_f64 v[20:21], v[46:47], -v[60:61]
	v_add_f64 v[8:9], v[8:9], v[46:47]
	v_add_f64 v[22:23], v[16:17], v[20:21]
	;; [unrolled: 1-line block ×4, first 2 shown]
	v_fma_f64 v[16:17], s[22:23], v[18:19], v[2:3]
	v_fmac_f64_e32 v[2:3], s[16:17], v[18:19]
	v_add_f64 v[8:9], v[8:9], v[44:45]
	v_fmac_f64_e32 v[16:17], s[8:9], v[12:13]
	v_fmac_f64_e32 v[2:3], s[24:25], v[12:13]
	v_add_f64 v[8:9], v[8:9], v[58:59]
	v_fmac_f64_e32 v[16:17], s[18:19], v[22:23]
	v_fmac_f64_e32 v[2:3], s[18:19], v[22:23]
	v_add_f64 v[22:23], v[8:9], v[62:63]
	v_add_f64 v[8:9], v[44:45], v[58:59]
	v_fma_f64 v[8:9], -0.5, v[8:9], v[4:5]
	v_add_f64 v[28:29], v[52:53], -v[60:61]
	v_add_f64 v[12:13], v[54:55], -v[44:45]
	;; [unrolled: 1-line block ×4, first 2 shown]
	v_add_f64 v[18:19], v[12:13], v[18:19]
	v_fma_f64 v[12:13], s[22:23], v[28:29], v[8:9]
	v_fmac_f64_e32 v[8:9], s[16:17], v[28:29]
	v_fmac_f64_e32 v[12:13], s[24:25], v[30:31]
	v_fmac_f64_e32 v[8:9], s[8:9], v[30:31]
	v_fmac_f64_e32 v[12:13], s[18:19], v[18:19]
	v_fmac_f64_e32 v[8:9], s[18:19], v[18:19]
	v_add_f64 v[18:19], v[54:55], v[62:63]
	v_fmac_f64_e32 v[4:5], -0.5, v[18:19]
	v_fma_f64 v[18:19], s[16:17], v[30:31], v[4:5]
	v_add_f64 v[38:39], v[44:45], -v[54:55]
	v_add_f64 v[44:45], v[58:59], -v[62:63]
	v_fmac_f64_e32 v[4:5], s[22:23], v[30:31]
	v_fmac_f64_e32 v[18:19], s[24:25], v[28:29]
	v_add_f64 v[38:39], v[38:39], v[44:45]
	v_fmac_f64_e32 v[4:5], s[8:9], v[28:29]
	v_add_f64 v[30:31], v[50:51], v[42:43]
	v_fmac_f64_e32 v[18:19], s[18:19], v[38:39]
	v_fmac_f64_e32 v[4:5], s[18:19], v[38:39]
	v_fma_f64 v[38:39], -0.5, v[30:31], v[24:25]
	v_add_f64 v[30:31], v[48:49], -v[36:37]
	v_fma_f64 v[44:45], s[16:17], v[30:31], v[38:39]
	v_add_f64 v[46:47], v[40:41], -v[32:33]
	v_add_f64 v[52:53], v[64:65], -v[50:51]
	;; [unrolled: 1-line block ×3, first 2 shown]
	v_fmac_f64_e32 v[38:39], s[22:23], v[30:31]
	v_fmac_f64_e32 v[44:45], s[8:9], v[46:47]
	v_add_f64 v[52:53], v[52:53], v[54:55]
	v_fmac_f64_e32 v[38:39], s[24:25], v[46:47]
	v_add_f64 v[28:29], v[24:25], v[64:65]
	v_fmac_f64_e32 v[44:45], s[18:19], v[52:53]
	v_fmac_f64_e32 v[38:39], s[18:19], v[52:53]
	v_add_f64 v[52:53], v[64:65], v[34:35]
	v_add_f64 v[28:29], v[28:29], v[50:51]
	v_fmac_f64_e32 v[24:25], -0.5, v[52:53]
	v_add_f64 v[52:53], v[50:51], -v[64:65]
	v_add_f64 v[54:55], v[42:43], -v[34:35]
	v_add_f64 v[28:29], v[28:29], v[42:43]
	v_add_f64 v[52:53], v[52:53], v[54:55]
	v_fma_f64 v[54:55], s[22:23], v[46:47], v[24:25]
	v_fmac_f64_e32 v[24:25], s[16:17], v[46:47]
	v_add_f64 v[46:47], v[40:41], v[32:33]
	v_add_f64 v[28:29], v[28:29], v[34:35]
	v_fmac_f64_e32 v[54:55], s[8:9], v[30:31]
	v_fmac_f64_e32 v[24:25], s[24:25], v[30:31]
	v_fma_f64 v[46:47], -0.5, v[46:47], v[26:27]
	v_add_f64 v[34:35], v[64:65], -v[34:35]
	v_fmac_f64_e32 v[54:55], s[18:19], v[52:53]
	v_fmac_f64_e32 v[24:25], s[18:19], v[52:53]
	v_fma_f64 v[52:53], s[22:23], v[34:35], v[46:47]
	v_add_f64 v[42:43], v[50:51], -v[42:43]
	v_add_f64 v[50:51], v[48:49], -v[40:41]
	;; [unrolled: 1-line block ×3, first 2 shown]
	v_fmac_f64_e32 v[46:47], s[16:17], v[34:35]
	v_fmac_f64_e32 v[52:53], s[24:25], v[42:43]
	v_add_f64 v[50:51], v[50:51], v[56:57]
	v_fmac_f64_e32 v[46:47], s[8:9], v[42:43]
	v_add_f64 v[30:31], v[26:27], v[48:49]
	v_fmac_f64_e32 v[52:53], s[18:19], v[50:51]
	v_fmac_f64_e32 v[46:47], s[18:19], v[50:51]
	v_add_f64 v[50:51], v[48:49], v[36:37]
	v_add_f64 v[30:31], v[30:31], v[40:41]
	v_fmac_f64_e32 v[26:27], -0.5, v[50:51]
	v_add_f64 v[30:31], v[30:31], v[32:33]
	v_fma_f64 v[50:51], s[16:17], v[42:43], v[26:27]
	v_add_f64 v[40:41], v[40:41], -v[48:49]
	v_add_f64 v[32:33], v[32:33], -v[36:37]
	v_fmac_f64_e32 v[26:27], s[22:23], v[42:43]
	v_fmac_f64_e32 v[50:51], s[24:25], v[34:35]
	v_add_f64 v[32:33], v[40:41], v[32:33]
	v_fmac_f64_e32 v[26:27], s[8:9], v[34:35]
	v_add_f64 v[30:31], v[30:31], v[36:37]
	v_fmac_f64_e32 v[50:51], s[18:19], v[32:33]
	v_fmac_f64_e32 v[26:27], s[18:19], v[32:33]
	s_waitcnt lgkmcnt(0)
	; wave barrier
	ds_write_b128 v14, v[20:23]
	ds_write_b128 v1, v[10:13] offset:160
	ds_write_b128 v1, v[16:19] offset:320
	;; [unrolled: 1-line block ×5, first 2 shown]
	ds_write2_b64 v14, v[44:45], v[52:53] offset0:30 offset1:31
	ds_write2_b64 v14, v[54:55], v[50:51] offset0:50 offset1:51
	;; [unrolled: 1-line block ×4, first 2 shown]
	v_mul_u32_u24_e32 v1, 0x199a, v0
	v_lshrrev_b32_e32 v1, 16, v1
	v_mul_lo_u16_e32 v2, 10, v1
	v_sub_u16_e32 v6, v0, v2
	v_mad_u64_u32 v[2:3], s[4:5], s12, v6, 0
	v_mov_b32_e32 v4, v3
	v_mad_u64_u32 v[4:5], s[4:5], s13, v6, v[4:5]
	v_mov_b32_e32 v3, v4
	v_mul_lo_u16_e32 v4, 51, v6
	s_add_u32 s4, s10, s2
	v_lshlrev_b32_e32 v4, 4, v4
	v_lshlrev_b32_e32 v5, 4, v1
	s_addc_u32 s5, s11, s3
	s_lshl_b64 s[2:3], s[20:21], 4
	v_add3_u32 v6, 0, v4, v5
	s_add_u32 s2, s4, s2
	s_waitcnt lgkmcnt(0)
	; wave barrier
	s_waitcnt lgkmcnt(0)
	s_addc_u32 s3, s5, s3
	s_lshl_b64 s[0:1], s[0:1], 4
	ds_read_b128 v[6:9], v6
	s_add_u32 s0, s2, s0
	s_addc_u32 s1, s3, s1
	v_mul_lo_u32 v14, s15, v1
	v_lshl_add_u64 v[2:3], v[2:3], 4, s[0:1]
	v_lshl_add_u64 v[16:17], v[14:15], 4, v[2:3]
	v_add3_u32 v4, 0, v5, v4
	ds_read_b128 v[10:13], v4 offset:720
	s_waitcnt lgkmcnt(1)
	global_store_dwordx4 v[16:17], v[6:9], off
	ds_read_b128 v[6:9], v4 offset:80
	ds_read_b128 v[16:19], v4 offset:160
	s_mul_i32 s0, s15, 5
	v_add_u32_e32 v14, s0, v14
	v_lshl_add_u64 v[20:21], v[14:15], 4, v[2:3]
	v_add_u32_e32 v14, s0, v14
	s_waitcnt lgkmcnt(1)
	global_store_dwordx4 v[20:21], v[6:9], off
	v_lshl_add_u64 v[20:21], v[14:15], 4, v[2:3]
	ds_read_b128 v[6:9], v4 offset:240
	s_waitcnt lgkmcnt(1)
	global_store_dwordx4 v[20:21], v[16:19], off
	ds_read_b128 v[16:19], v4 offset:320
	v_add_u32_e32 v14, s0, v14
	v_lshl_add_u64 v[20:21], v[14:15], 4, v[2:3]
	v_add_u32_e32 v14, s0, v14
	s_waitcnt lgkmcnt(1)
	global_store_dwordx4 v[20:21], v[6:9], off
	v_lshl_add_u64 v[20:21], v[14:15], 4, v[2:3]
	ds_read_b128 v[6:9], v4 offset:400
	s_waitcnt lgkmcnt(1)
	global_store_dwordx4 v[20:21], v[16:19], off
	ds_read_b128 v[16:19], v4 offset:480
	;; [unrolled: 10-line block ×3, first 2 shown]
	v_add_u32_e32 v14, s0, v14
	v_lshl_add_u64 v[20:21], v[14:15], 4, v[2:3]
	v_add_u32_e32 v14, s0, v14
	s_waitcnt lgkmcnt(1)
	global_store_dwordx4 v[20:21], v[6:9], off
	s_nop 1
	v_lshl_add_u64 v[6:7], v[14:15], 4, v[2:3]
	v_add_u32_e32 v14, s0, v14
	s_waitcnt lgkmcnt(0)
	global_store_dwordx4 v[6:7], v[16:19], off
	v_lshl_add_u64 v[6:7], v[14:15], 4, v[2:3]
	global_store_dwordx4 v[6:7], v[10:13], off
	s_and_saveexec_b64 s[0:1], vcc
	s_cbranch_execz .LBB0_2
; %bb.1:
	ds_read_b128 v[4:7], v4 offset:800
	v_or_b32_e32 v0, 50, v1
	v_mul_lo_u32 v14, v0, s15
	v_lshl_add_u64 v[0:1], v[14:15], 4, v[2:3]
	s_waitcnt lgkmcnt(0)
	global_store_dwordx4 v[0:1], v[4:7], off
.LBB0_2:
	s_endpgm
	.section	.rodata,"a",@progbits
	.p2align	6, 0x0
	.amdhsa_kernel fft_rtc_back_len50_factors_10_5_wgs_50_tpt_5_dp_op_CI_CI_sbrc_erc_z_xy_aligned
		.amdhsa_group_segment_fixed_size 0
		.amdhsa_private_segment_fixed_size 0
		.amdhsa_kernarg_size 104
		.amdhsa_user_sgpr_count 2
		.amdhsa_user_sgpr_dispatch_ptr 0
		.amdhsa_user_sgpr_queue_ptr 0
		.amdhsa_user_sgpr_kernarg_segment_ptr 1
		.amdhsa_user_sgpr_dispatch_id 0
		.amdhsa_user_sgpr_kernarg_preload_length 0
		.amdhsa_user_sgpr_kernarg_preload_offset 0
		.amdhsa_user_sgpr_private_segment_size 0
		.amdhsa_uses_dynamic_stack 0
		.amdhsa_enable_private_segment 0
		.amdhsa_system_sgpr_workgroup_id_x 1
		.amdhsa_system_sgpr_workgroup_id_y 0
		.amdhsa_system_sgpr_workgroup_id_z 0
		.amdhsa_system_sgpr_workgroup_info 0
		.amdhsa_system_vgpr_workitem_id 0
		.amdhsa_next_free_vgpr 67
		.amdhsa_next_free_sgpr 32
		.amdhsa_accum_offset 68
		.amdhsa_reserve_vcc 1
		.amdhsa_float_round_mode_32 0
		.amdhsa_float_round_mode_16_64 0
		.amdhsa_float_denorm_mode_32 3
		.amdhsa_float_denorm_mode_16_64 3
		.amdhsa_dx10_clamp 1
		.amdhsa_ieee_mode 1
		.amdhsa_fp16_overflow 0
		.amdhsa_tg_split 0
		.amdhsa_exception_fp_ieee_invalid_op 0
		.amdhsa_exception_fp_denorm_src 0
		.amdhsa_exception_fp_ieee_div_zero 0
		.amdhsa_exception_fp_ieee_overflow 0
		.amdhsa_exception_fp_ieee_underflow 0
		.amdhsa_exception_fp_ieee_inexact 0
		.amdhsa_exception_int_div_zero 0
	.end_amdhsa_kernel
	.text
.Lfunc_end0:
	.size	fft_rtc_back_len50_factors_10_5_wgs_50_tpt_5_dp_op_CI_CI_sbrc_erc_z_xy_aligned, .Lfunc_end0-fft_rtc_back_len50_factors_10_5_wgs_50_tpt_5_dp_op_CI_CI_sbrc_erc_z_xy_aligned
                                        ; -- End function
	.section	.AMDGPU.csdata,"",@progbits
; Kernel info:
; codeLenInByte = 4008
; NumSgprs: 38
; NumVgprs: 67
; NumAgprs: 0
; TotalNumVgprs: 67
; ScratchSize: 0
; MemoryBound: 0
; FloatMode: 240
; IeeeMode: 1
; LDSByteSize: 0 bytes/workgroup (compile time only)
; SGPRBlocks: 4
; VGPRBlocks: 8
; NumSGPRsForWavesPerEU: 38
; NumVGPRsForWavesPerEU: 67
; AccumOffset: 68
; Occupancy: 7
; WaveLimiterHint : 1
; COMPUTE_PGM_RSRC2:SCRATCH_EN: 0
; COMPUTE_PGM_RSRC2:USER_SGPR: 2
; COMPUTE_PGM_RSRC2:TRAP_HANDLER: 0
; COMPUTE_PGM_RSRC2:TGID_X_EN: 1
; COMPUTE_PGM_RSRC2:TGID_Y_EN: 0
; COMPUTE_PGM_RSRC2:TGID_Z_EN: 0
; COMPUTE_PGM_RSRC2:TIDIG_COMP_CNT: 0
; COMPUTE_PGM_RSRC3_GFX90A:ACCUM_OFFSET: 16
; COMPUTE_PGM_RSRC3_GFX90A:TG_SPLIT: 0
	.text
	.p2alignl 6, 3212836864
	.fill 256, 4, 3212836864
	.type	__hip_cuid_d06c4f33b401f830,@object ; @__hip_cuid_d06c4f33b401f830
	.section	.bss,"aw",@nobits
	.globl	__hip_cuid_d06c4f33b401f830
__hip_cuid_d06c4f33b401f830:
	.byte	0                               ; 0x0
	.size	__hip_cuid_d06c4f33b401f830, 1

	.ident	"AMD clang version 19.0.0git (https://github.com/RadeonOpenCompute/llvm-project roc-6.4.0 25133 c7fe45cf4b819c5991fe208aaa96edf142730f1d)"
	.section	".note.GNU-stack","",@progbits
	.addrsig
	.addrsig_sym __hip_cuid_d06c4f33b401f830
	.amdgpu_metadata
---
amdhsa.kernels:
  - .agpr_count:     0
    .args:
      - .actual_access:  read_only
        .address_space:  global
        .offset:         0
        .size:           8
        .value_kind:     global_buffer
      - .offset:         8
        .size:           8
        .value_kind:     by_value
      - .actual_access:  read_only
        .address_space:  global
        .offset:         16
        .size:           8
        .value_kind:     global_buffer
      - .actual_access:  read_only
        .address_space:  global
        .offset:         24
        .size:           8
        .value_kind:     global_buffer
      - .actual_access:  read_only
        .address_space:  global
        .offset:         32
        .size:           8
        .value_kind:     global_buffer
      - .offset:         40
        .size:           8
        .value_kind:     by_value
      - .actual_access:  read_only
        .address_space:  global
        .offset:         48
        .size:           8
        .value_kind:     global_buffer
      - .actual_access:  read_only
        .address_space:  global
        .offset:         56
        .size:           8
        .value_kind:     global_buffer
      - .offset:         64
        .size:           4
        .value_kind:     by_value
      - .actual_access:  read_only
        .address_space:  global
        .offset:         72
        .size:           8
        .value_kind:     global_buffer
      - .actual_access:  read_only
        .address_space:  global
        .offset:         80
        .size:           8
        .value_kind:     global_buffer
      - .actual_access:  read_only
        .address_space:  global
        .offset:         88
        .size:           8
        .value_kind:     global_buffer
      - .actual_access:  write_only
        .address_space:  global
        .offset:         96
        .size:           8
        .value_kind:     global_buffer
    .group_segment_fixed_size: 0
    .kernarg_segment_align: 8
    .kernarg_segment_size: 104
    .language:       OpenCL C
    .language_version:
      - 2
      - 0
    .max_flat_workgroup_size: 50
    .name:           fft_rtc_back_len50_factors_10_5_wgs_50_tpt_5_dp_op_CI_CI_sbrc_erc_z_xy_aligned
    .private_segment_fixed_size: 0
    .sgpr_count:     38
    .sgpr_spill_count: 0
    .symbol:         fft_rtc_back_len50_factors_10_5_wgs_50_tpt_5_dp_op_CI_CI_sbrc_erc_z_xy_aligned.kd
    .uniform_work_group_size: 1
    .uses_dynamic_stack: false
    .vgpr_count:     67
    .vgpr_spill_count: 0
    .wavefront_size: 64
amdhsa.target:   amdgcn-amd-amdhsa--gfx950
amdhsa.version:
  - 1
  - 2
...

	.end_amdgpu_metadata
